;; amdgpu-corpus repo=ROCm/rocFFT kind=compiled arch=gfx906 opt=O3
	.text
	.amdgcn_target "amdgcn-amd-amdhsa--gfx906"
	.amdhsa_code_object_version 6
	.protected	fft_rtc_back_len196_factors_4_7_7_wgs_56_tpt_28_dp_op_CI_CI_unitstride_sbrr_C2R_dirReg ; -- Begin function fft_rtc_back_len196_factors_4_7_7_wgs_56_tpt_28_dp_op_CI_CI_unitstride_sbrr_C2R_dirReg
	.globl	fft_rtc_back_len196_factors_4_7_7_wgs_56_tpt_28_dp_op_CI_CI_unitstride_sbrr_C2R_dirReg
	.p2align	8
	.type	fft_rtc_back_len196_factors_4_7_7_wgs_56_tpt_28_dp_op_CI_CI_unitstride_sbrr_C2R_dirReg,@function
fft_rtc_back_len196_factors_4_7_7_wgs_56_tpt_28_dp_op_CI_CI_unitstride_sbrr_C2R_dirReg: ; @fft_rtc_back_len196_factors_4_7_7_wgs_56_tpt_28_dp_op_CI_CI_unitstride_sbrr_C2R_dirReg
; %bb.0:
	s_load_dwordx4 s[8:11], s[4:5], 0x58
	s_load_dwordx4 s[12:15], s[4:5], 0x0
	;; [unrolled: 1-line block ×3, first 2 shown]
	v_mul_u32_u24_e32 v1, 0x925, v0
	v_lshrrev_b32_e32 v7, 16, v1
	v_mov_b32_e32 v3, 0
	s_waitcnt lgkmcnt(0)
	v_cmp_lt_u64_e64 s[0:1], s[14:15], 2
	v_mov_b32_e32 v1, 0
	v_lshl_add_u32 v5, s6, 1, v7
	v_mov_b32_e32 v6, v3
	s_and_b64 vcc, exec, s[0:1]
	v_mov_b32_e32 v2, 0
	s_cbranch_vccnz .LBB0_8
; %bb.1:
	s_load_dwordx2 s[0:1], s[4:5], 0x10
	s_add_u32 s2, s18, 8
	s_addc_u32 s3, s19, 0
	s_add_u32 s6, s16, 8
	v_mov_b32_e32 v1, 0
	s_addc_u32 s7, s17, 0
	v_mov_b32_e32 v2, 0
	s_waitcnt lgkmcnt(0)
	s_add_u32 s20, s0, 8
	v_mov_b32_e32 v17, v2
	s_addc_u32 s21, s1, 0
	s_mov_b64 s[22:23], 1
	v_mov_b32_e32 v16, v1
.LBB0_2:                                ; =>This Inner Loop Header: Depth=1
	s_load_dwordx2 s[24:25], s[20:21], 0x0
                                        ; implicit-def: $vgpr18_vgpr19
	s_waitcnt lgkmcnt(0)
	v_or_b32_e32 v4, s25, v6
	v_cmp_ne_u64_e32 vcc, 0, v[3:4]
	s_and_saveexec_b64 s[0:1], vcc
	s_xor_b64 s[26:27], exec, s[0:1]
	s_cbranch_execz .LBB0_4
; %bb.3:                                ;   in Loop: Header=BB0_2 Depth=1
	v_cvt_f32_u32_e32 v4, s24
	v_cvt_f32_u32_e32 v8, s25
	s_sub_u32 s0, 0, s24
	s_subb_u32 s1, 0, s25
	v_mac_f32_e32 v4, 0x4f800000, v8
	v_rcp_f32_e32 v4, v4
	v_mul_f32_e32 v4, 0x5f7ffffc, v4
	v_mul_f32_e32 v8, 0x2f800000, v4
	v_trunc_f32_e32 v8, v8
	v_mac_f32_e32 v4, 0xcf800000, v8
	v_cvt_u32_f32_e32 v8, v8
	v_cvt_u32_f32_e32 v4, v4
	v_mul_lo_u32 v9, s0, v8
	v_mul_hi_u32 v10, s0, v4
	v_mul_lo_u32 v12, s1, v4
	v_mul_lo_u32 v11, s0, v4
	v_add_u32_e32 v9, v10, v9
	v_add_u32_e32 v9, v9, v12
	v_mul_hi_u32 v10, v4, v11
	v_mul_lo_u32 v12, v4, v9
	v_mul_hi_u32 v14, v4, v9
	v_mul_hi_u32 v13, v8, v11
	v_mul_lo_u32 v11, v8, v11
	v_mul_hi_u32 v15, v8, v9
	v_add_co_u32_e32 v10, vcc, v10, v12
	v_addc_co_u32_e32 v12, vcc, 0, v14, vcc
	v_mul_lo_u32 v9, v8, v9
	v_add_co_u32_e32 v10, vcc, v10, v11
	v_addc_co_u32_e32 v10, vcc, v12, v13, vcc
	v_addc_co_u32_e32 v11, vcc, 0, v15, vcc
	v_add_co_u32_e32 v9, vcc, v10, v9
	v_addc_co_u32_e32 v10, vcc, 0, v11, vcc
	v_add_co_u32_e32 v4, vcc, v4, v9
	v_addc_co_u32_e32 v8, vcc, v8, v10, vcc
	v_mul_lo_u32 v9, s0, v8
	v_mul_hi_u32 v10, s0, v4
	v_mul_lo_u32 v11, s1, v4
	v_mul_lo_u32 v12, s0, v4
	v_add_u32_e32 v9, v10, v9
	v_add_u32_e32 v9, v9, v11
	v_mul_lo_u32 v13, v4, v9
	v_mul_hi_u32 v14, v4, v12
	v_mul_hi_u32 v15, v4, v9
	;; [unrolled: 1-line block ×3, first 2 shown]
	v_mul_lo_u32 v12, v8, v12
	v_mul_hi_u32 v10, v8, v9
	v_add_co_u32_e32 v13, vcc, v14, v13
	v_addc_co_u32_e32 v14, vcc, 0, v15, vcc
	v_mul_lo_u32 v9, v8, v9
	v_add_co_u32_e32 v12, vcc, v13, v12
	v_addc_co_u32_e32 v11, vcc, v14, v11, vcc
	v_addc_co_u32_e32 v10, vcc, 0, v10, vcc
	v_add_co_u32_e32 v9, vcc, v11, v9
	v_addc_co_u32_e32 v10, vcc, 0, v10, vcc
	v_add_co_u32_e32 v4, vcc, v4, v9
	v_addc_co_u32_e32 v10, vcc, v8, v10, vcc
	v_mad_u64_u32 v[8:9], s[0:1], v5, v10, 0
	v_mul_hi_u32 v11, v5, v4
	v_add_co_u32_e32 v12, vcc, v11, v8
	v_addc_co_u32_e32 v13, vcc, 0, v9, vcc
	v_mad_u64_u32 v[8:9], s[0:1], v6, v4, 0
	v_mad_u64_u32 v[10:11], s[0:1], v6, v10, 0
	v_add_co_u32_e32 v4, vcc, v12, v8
	v_addc_co_u32_e32 v4, vcc, v13, v9, vcc
	v_addc_co_u32_e32 v8, vcc, 0, v11, vcc
	v_add_co_u32_e32 v4, vcc, v4, v10
	v_addc_co_u32_e32 v10, vcc, 0, v8, vcc
	v_mul_lo_u32 v11, s25, v4
	v_mul_lo_u32 v12, s24, v10
	v_mad_u64_u32 v[8:9], s[0:1], s24, v4, 0
	v_add3_u32 v9, v9, v12, v11
	v_sub_u32_e32 v11, v6, v9
	v_mov_b32_e32 v12, s25
	v_sub_co_u32_e32 v8, vcc, v5, v8
	v_subb_co_u32_e64 v11, s[0:1], v11, v12, vcc
	v_subrev_co_u32_e64 v12, s[0:1], s24, v8
	v_subbrev_co_u32_e64 v11, s[0:1], 0, v11, s[0:1]
	v_cmp_le_u32_e64 s[0:1], s25, v11
	v_cndmask_b32_e64 v13, 0, -1, s[0:1]
	v_cmp_le_u32_e64 s[0:1], s24, v12
	v_cndmask_b32_e64 v12, 0, -1, s[0:1]
	v_cmp_eq_u32_e64 s[0:1], s25, v11
	v_cndmask_b32_e64 v11, v13, v12, s[0:1]
	v_add_co_u32_e64 v12, s[0:1], 2, v4
	v_addc_co_u32_e64 v13, s[0:1], 0, v10, s[0:1]
	v_add_co_u32_e64 v14, s[0:1], 1, v4
	v_addc_co_u32_e64 v15, s[0:1], 0, v10, s[0:1]
	v_subb_co_u32_e32 v9, vcc, v6, v9, vcc
	v_cmp_ne_u32_e64 s[0:1], 0, v11
	v_cmp_le_u32_e32 vcc, s25, v9
	v_cndmask_b32_e64 v11, v15, v13, s[0:1]
	v_cndmask_b32_e64 v13, 0, -1, vcc
	v_cmp_le_u32_e32 vcc, s24, v8
	v_cndmask_b32_e64 v8, 0, -1, vcc
	v_cmp_eq_u32_e32 vcc, s25, v9
	v_cndmask_b32_e32 v8, v13, v8, vcc
	v_cmp_ne_u32_e32 vcc, 0, v8
	v_cndmask_b32_e64 v8, v14, v12, s[0:1]
	v_cndmask_b32_e32 v19, v10, v11, vcc
	v_cndmask_b32_e32 v18, v4, v8, vcc
.LBB0_4:                                ;   in Loop: Header=BB0_2 Depth=1
	s_andn2_saveexec_b64 s[0:1], s[26:27]
	s_cbranch_execz .LBB0_6
; %bb.5:                                ;   in Loop: Header=BB0_2 Depth=1
	v_cvt_f32_u32_e32 v4, s24
	s_sub_i32 s26, 0, s24
	v_mov_b32_e32 v19, v3
	v_rcp_iflag_f32_e32 v4, v4
	v_mul_f32_e32 v4, 0x4f7ffffe, v4
	v_cvt_u32_f32_e32 v4, v4
	v_mul_lo_u32 v8, s26, v4
	v_mul_hi_u32 v8, v4, v8
	v_add_u32_e32 v4, v4, v8
	v_mul_hi_u32 v4, v5, v4
	v_mul_lo_u32 v8, v4, s24
	v_add_u32_e32 v9, 1, v4
	v_sub_u32_e32 v8, v5, v8
	v_subrev_u32_e32 v10, s24, v8
	v_cmp_le_u32_e32 vcc, s24, v8
	v_cndmask_b32_e32 v8, v8, v10, vcc
	v_cndmask_b32_e32 v4, v4, v9, vcc
	v_add_u32_e32 v9, 1, v4
	v_cmp_le_u32_e32 vcc, s24, v8
	v_cndmask_b32_e32 v18, v4, v9, vcc
.LBB0_6:                                ;   in Loop: Header=BB0_2 Depth=1
	s_or_b64 exec, exec, s[0:1]
	v_mul_lo_u32 v4, v19, s24
	v_mul_lo_u32 v10, v18, s25
	v_mad_u64_u32 v[8:9], s[0:1], v18, s24, 0
	s_load_dwordx2 s[0:1], s[6:7], 0x0
	s_load_dwordx2 s[24:25], s[2:3], 0x0
	v_add3_u32 v4, v9, v10, v4
	v_sub_co_u32_e32 v5, vcc, v5, v8
	v_subb_co_u32_e32 v4, vcc, v6, v4, vcc
	s_waitcnt lgkmcnt(0)
	v_mul_lo_u32 v6, s0, v4
	v_mul_lo_u32 v8, s1, v5
	v_mad_u64_u32 v[1:2], s[0:1], s0, v5, v[1:2]
	v_mul_lo_u32 v4, s24, v4
	v_mul_lo_u32 v9, s25, v5
	v_mad_u64_u32 v[16:17], s[0:1], s24, v5, v[16:17]
	s_add_u32 s22, s22, 1
	s_addc_u32 s23, s23, 0
	s_add_u32 s2, s2, 8
	v_add3_u32 v17, v9, v17, v4
	s_addc_u32 s3, s3, 0
	v_mov_b32_e32 v4, s14
	s_add_u32 s6, s6, 8
	v_mov_b32_e32 v5, s15
	s_addc_u32 s7, s7, 0
	v_cmp_ge_u64_e32 vcc, s[22:23], v[4:5]
	s_add_u32 s20, s20, 8
	v_add3_u32 v2, v8, v2, v6
	s_addc_u32 s21, s21, 0
	s_cbranch_vccnz .LBB0_9
; %bb.7:                                ;   in Loop: Header=BB0_2 Depth=1
	v_mov_b32_e32 v5, v18
	v_mov_b32_e32 v6, v19
	s_branch .LBB0_2
.LBB0_8:
	v_mov_b32_e32 v17, v2
	v_mov_b32_e32 v19, v6
	;; [unrolled: 1-line block ×4, first 2 shown]
.LBB0_9:
	s_load_dwordx2 s[2:3], s[4:5], 0x28
	s_lshl_b64 s[6:7], s[14:15], 3
	s_add_u32 s14, s18, s6
	v_and_b32_e32 v3, 1, v7
	s_addc_u32 s15, s19, s7
	s_waitcnt lgkmcnt(0)
	v_cmp_gt_u64_e32 vcc, s[2:3], v[18:19]
	v_cmp_le_u64_e64 s[2:3], s[2:3], v[18:19]
	v_cmp_eq_u32_e64 s[0:1], 1, v3
	v_mov_b32_e32 v3, 0xc5
                                        ; implicit-def: $vgpr20
	s_and_saveexec_b64 s[4:5], s[2:3]
	s_xor_b64 s[2:3], exec, s[4:5]
; %bb.10:
	s_mov_b32 s4, 0x924924a
	v_mul_hi_u32 v1, v0, s4
	v_mul_u32_u24_e32 v1, 28, v1
	v_sub_u32_e32 v20, v0, v1
                                        ; implicit-def: $vgpr0
                                        ; implicit-def: $vgpr1_vgpr2
; %bb.11:
	s_or_saveexec_b64 s[4:5], s[2:3]
	s_load_dwordx2 s[2:3], s[14:15], 0x0
	v_cndmask_b32_e64 v3, 0, v3, s[0:1]
	v_lshlrev_b32_e32 v24, 4, v3
	s_xor_b64 exec, exec, s[4:5]
	s_cbranch_execz .LBB0_15
; %bb.12:
	s_add_u32 s0, s16, s6
	s_addc_u32 s1, s17, s7
	s_load_dwordx2 s[0:1], s[0:1], 0x0
	s_mov_b32 s6, 0x924924a
	v_mul_hi_u32 v6, v0, s6
	s_waitcnt lgkmcnt(0)
	v_mul_lo_u32 v7, s1, v18
	v_mul_lo_u32 v8, s0, v19
	v_mad_u64_u32 v[4:5], s[0:1], s0, v18, 0
	v_mul_u32_u24_e32 v6, 28, v6
	v_sub_u32_e32 v20, v0, v6
	v_add3_u32 v5, v5, v8, v7
	v_lshlrev_b64 v[4:5], 4, v[4:5]
	v_mov_b32_e32 v0, s9
	v_add_co_u32_e64 v4, s[0:1], s8, v4
	v_addc_co_u32_e64 v5, s[0:1], v0, v5, s[0:1]
	v_lshlrev_b64 v[0:1], 4, v[1:2]
	v_lshlrev_b32_e32 v2, 4, v20
	v_add_co_u32_e64 v0, s[0:1], v4, v0
	v_addc_co_u32_e64 v1, s[0:1], v5, v1, s[0:1]
	v_add_co_u32_e64 v21, s[0:1], v0, v2
	v_addc_co_u32_e64 v22, s[0:1], 0, v1, s[0:1]
	global_load_dwordx4 v[4:7], v[21:22], off
	global_load_dwordx4 v[8:11], v[21:22], off offset:448
	global_load_dwordx4 v[12:15], v[21:22], off offset:896
	;; [unrolled: 1-line block ×6, first 2 shown]
	v_add3_u32 v2, 0, v24, v2
	v_cmp_eq_u32_e64 s[0:1], 27, v20
	s_waitcnt vmcnt(6)
	ds_write_b128 v2, v[4:7]
	s_waitcnt vmcnt(5)
	ds_write_b128 v2, v[8:11] offset:448
	s_waitcnt vmcnt(4)
	ds_write_b128 v2, v[12:15] offset:896
	;; [unrolled: 2-line block ×6, first 2 shown]
	s_and_saveexec_b64 s[6:7], s[0:1]
	s_cbranch_execz .LBB0_14
; %bb.13:
	global_load_dwordx4 v[4:7], v[0:1], off offset:3136
	v_mov_b32_e32 v20, 27
	s_waitcnt vmcnt(0)
	ds_write_b128 v2, v[4:7] offset:2704
.LBB0_14:
	s_or_b64 exec, exec, s[6:7]
.LBB0_15:
	s_or_b64 exec, exec, s[4:5]
	v_lshl_add_u32 v22, v3, 4, 0
	v_lshlrev_b32_e32 v10, 4, v20
	v_add_u32_e32 v23, v22, v10
	s_waitcnt lgkmcnt(0)
	; wave barrier
	s_waitcnt lgkmcnt(0)
	v_sub_u32_e32 v11, v22, v10
	ds_read_b64 v[6:7], v23
	ds_read_b64 v[8:9], v11 offset:3136
	v_cmp_ne_u32_e64 s[0:1], 0, v20
                                        ; implicit-def: $vgpr4_vgpr5
	s_waitcnt lgkmcnt(0)
	v_add_f64 v[0:1], v[6:7], v[8:9]
	v_add_f64 v[2:3], v[6:7], -v[8:9]
	s_and_saveexec_b64 s[4:5], s[0:1]
	s_xor_b64 s[4:5], exec, s[4:5]
	s_cbranch_execz .LBB0_17
; %bb.16:
	v_mov_b32_e32 v21, 0
	v_lshlrev_b64 v[0:1], 4, v[20:21]
	v_mov_b32_e32 v2, s13
	v_add_co_u32_e64 v0, s[0:1], s12, v0
	v_addc_co_u32_e64 v1, s[0:1], v2, v1, s[0:1]
	global_load_dwordx4 v[2:5], v[0:1], off offset:3072
	ds_read_b64 v[0:1], v11 offset:3144
	ds_read_b64 v[12:13], v23 offset:8
	v_add_f64 v[14:15], v[6:7], v[8:9]
	v_add_f64 v[8:9], v[6:7], -v[8:9]
	s_waitcnt lgkmcnt(0)
	v_add_f64 v[25:26], v[0:1], v[12:13]
	v_add_f64 v[0:1], v[12:13], -v[0:1]
	s_waitcnt vmcnt(0)
	v_fma_f64 v[6:7], -v[8:9], v[4:5], v[14:15]
	v_fma_f64 v[12:13], v[25:26], v[4:5], -v[0:1]
	v_fma_f64 v[14:15], v[8:9], v[4:5], v[14:15]
	v_fma_f64 v[27:28], v[25:26], v[4:5], v[0:1]
	;; [unrolled: 1-line block ×4, first 2 shown]
	v_fma_f64 v[0:1], -v[25:26], v[2:3], v[14:15]
	v_fma_f64 v[2:3], v[8:9], v[2:3], v[27:28]
	ds_write_b128 v11, v[4:7] offset:3136
	v_mov_b32_e32 v4, v20
	v_mov_b32_e32 v5, v21
.LBB0_17:
	s_andn2_saveexec_b64 s[0:1], s[4:5]
	s_cbranch_execz .LBB0_19
; %bb.18:
	ds_read_b128 v[4:7], v22 offset:1568
	s_waitcnt lgkmcnt(0)
	v_add_f64 v[12:13], v[4:5], v[4:5]
	v_mul_f64 v[14:15], v[6:7], -2.0
	v_mov_b32_e32 v4, 0
	v_mov_b32_e32 v5, 0
	ds_write_b128 v22, v[12:15] offset:1568
.LBB0_19:
	s_or_b64 exec, exec, s[0:1]
	s_add_u32 s0, s12, 0xc00
	v_lshlrev_b64 v[4:5], 4, v[4:5]
	s_addc_u32 s1, s13, 0
	v_mov_b32_e32 v6, s1
	v_add_co_u32_e64 v4, s[0:1], s0, v4
	v_addc_co_u32_e64 v5, s[0:1], v6, v5, s[0:1]
	global_load_dwordx4 v[6:9], v[4:5], off offset:448
	global_load_dwordx4 v[12:15], v[4:5], off offset:896
	ds_write_b128 v23, v[0:3]
	ds_read_b128 v[0:3], v23 offset:448
	ds_read_b128 v[25:28], v11 offset:2688
	v_cmp_gt_u32_e64 s[0:1], 14, v20
	s_waitcnt lgkmcnt(0)
	v_add_f64 v[29:30], v[0:1], v[25:26]
	v_add_f64 v[31:32], v[27:28], v[2:3]
	v_add_f64 v[33:34], v[0:1], -v[25:26]
	v_add_f64 v[0:1], v[2:3], -v[27:28]
	s_waitcnt vmcnt(1)
	v_fma_f64 v[2:3], v[33:34], v[8:9], v[29:30]
	v_fma_f64 v[25:26], v[31:32], v[8:9], v[0:1]
	v_fma_f64 v[27:28], -v[33:34], v[8:9], v[29:30]
	v_fma_f64 v[8:9], v[31:32], v[8:9], -v[0:1]
	v_fma_f64 v[0:1], -v[31:32], v[6:7], v[2:3]
	v_fma_f64 v[2:3], v[33:34], v[6:7], v[25:26]
	v_fma_f64 v[25:26], v[31:32], v[6:7], v[27:28]
	;; [unrolled: 1-line block ×3, first 2 shown]
	ds_write_b128 v23, v[0:3] offset:448
	ds_write_b128 v11, v[25:28] offset:2688
	ds_read_b128 v[0:3], v23 offset:896
	ds_read_b128 v[6:9], v11 offset:2240
	s_waitcnt lgkmcnt(0)
	v_add_f64 v[25:26], v[0:1], v[6:7]
	v_add_f64 v[27:28], v[8:9], v[2:3]
	v_add_f64 v[29:30], v[0:1], -v[6:7]
	v_add_f64 v[0:1], v[2:3], -v[8:9]
	s_waitcnt vmcnt(0)
	v_fma_f64 v[2:3], v[29:30], v[14:15], v[25:26]
	v_fma_f64 v[6:7], v[27:28], v[14:15], v[0:1]
	v_fma_f64 v[8:9], -v[29:30], v[14:15], v[25:26]
	v_fma_f64 v[14:15], v[27:28], v[14:15], -v[0:1]
	v_fma_f64 v[0:1], -v[27:28], v[12:13], v[2:3]
	v_fma_f64 v[2:3], v[29:30], v[12:13], v[6:7]
	v_fma_f64 v[6:7], v[27:28], v[12:13], v[8:9]
	;; [unrolled: 1-line block ×3, first 2 shown]
	ds_write_b128 v23, v[0:3] offset:896
	ds_write_b128 v11, v[6:9] offset:2240
	s_and_saveexec_b64 s[4:5], s[0:1]
	s_cbranch_execz .LBB0_21
; %bb.20:
	global_load_dwordx4 v[0:3], v[4:5], off offset:1344
	ds_read_b128 v[4:7], v23 offset:1344
	ds_read_b128 v[12:15], v11 offset:1792
	s_waitcnt lgkmcnt(0)
	v_add_f64 v[8:9], v[4:5], v[12:13]
	v_add_f64 v[25:26], v[14:15], v[6:7]
	v_add_f64 v[12:13], v[4:5], -v[12:13]
	v_add_f64 v[4:5], v[6:7], -v[14:15]
	s_waitcnt vmcnt(0)
	v_fma_f64 v[6:7], v[12:13], v[2:3], v[8:9]
	v_fma_f64 v[14:15], v[25:26], v[2:3], v[4:5]
	v_fma_f64 v[8:9], -v[12:13], v[2:3], v[8:9]
	v_fma_f64 v[27:28], v[25:26], v[2:3], -v[4:5]
	v_fma_f64 v[2:3], -v[25:26], v[0:1], v[6:7]
	v_fma_f64 v[4:5], v[12:13], v[0:1], v[14:15]
	v_fma_f64 v[6:7], v[25:26], v[0:1], v[8:9]
	;; [unrolled: 1-line block ×3, first 2 shown]
	ds_write_b128 v23, v[2:5] offset:1344
	ds_write_b128 v11, v[6:9] offset:1792
.LBB0_21:
	s_or_b64 exec, exec, s[4:5]
	v_add3_u32 v21, 0, v10, v24
	s_waitcnt lgkmcnt(0)
	; wave barrier
	s_waitcnt lgkmcnt(0)
	s_waitcnt lgkmcnt(0)
	; wave barrier
	s_waitcnt lgkmcnt(0)
	ds_read_b128 v[4:7], v21 offset:2352
	ds_read_b128 v[25:28], v21 offset:784
	ds_read_b128 v[29:32], v21 offset:1568
	ds_read_b128 v[0:3], v21 offset:1232
	ds_read_b128 v[8:11], v21 offset:2800
	ds_read_b128 v[33:36], v23
	s_waitcnt lgkmcnt(4)
	v_add_f64 v[37:38], v[25:26], -v[4:5]
	v_add_f64 v[39:40], v[27:28], -v[6:7]
	ds_read_b128 v[4:7], v21 offset:448
	ds_read_b128 v[12:15], v21 offset:2016
	v_cmp_gt_u32_e64 s[0:1], 21, v20
	s_waitcnt lgkmcnt(2)
	v_add_f64 v[41:42], v[33:34], -v[29:30]
	v_add_f64 v[43:44], v[35:36], -v[31:32]
	s_waitcnt lgkmcnt(0)
	; wave barrier
	s_waitcnt lgkmcnt(0)
	v_fma_f64 v[29:30], v[25:26], 2.0, -v[37:38]
	v_fma_f64 v[31:32], v[27:28], 2.0, -v[39:40]
	;; [unrolled: 1-line block ×4, first 2 shown]
	v_add_f64 v[25:26], v[41:42], v[39:40]
	v_add_f64 v[27:28], v[43:44], -v[37:38]
	v_add_f64 v[29:30], v[45:46], -v[29:30]
	;; [unrolled: 1-line block ×3, first 2 shown]
	v_fma_f64 v[33:34], v[41:42], 2.0, -v[25:26]
	v_fma_f64 v[35:36], v[43:44], 2.0, -v[27:28]
	v_mad_u32_u24 v41, v20, 48, v21
	v_fma_f64 v[37:38], v[45:46], 2.0, -v[29:30]
	v_fma_f64 v[39:40], v[47:48], 2.0, -v[31:32]
	ds_write_b128 v41, v[25:28] offset:48
	ds_write_b128 v41, v[33:36] offset:16
	;; [unrolled: 1-line block ×3, first 2 shown]
	ds_write_b128 v41, v[37:40]
	s_and_saveexec_b64 s[4:5], s[0:1]
	s_cbranch_execz .LBB0_23
; %bb.22:
	v_add_f64 v[14:15], v[6:7], -v[14:15]
	v_add_f64 v[10:11], v[2:3], -v[10:11]
	;; [unrolled: 1-line block ×4, first 2 shown]
	v_fma_f64 v[25:26], v[6:7], 2.0, -v[14:15]
	v_fma_f64 v[6:7], v[2:3], 2.0, -v[10:11]
	;; [unrolled: 1-line block ×4, first 2 shown]
	v_add_f64 v[2:3], v[14:15], -v[8:9]
	v_add_f64 v[0:1], v[12:13], v[10:11]
	v_add_f64 v[6:7], v[25:26], -v[6:7]
	v_add_f64 v[4:5], v[27:28], -v[4:5]
	v_fma_f64 v[10:11], v[14:15], 2.0, -v[2:3]
	v_fma_f64 v[8:9], v[12:13], 2.0, -v[0:1]
	;; [unrolled: 1-line block ×3, first 2 shown]
	v_lshlrev_b32_e32 v25, 6, v20
	v_fma_f64 v[12:13], v[27:28], 2.0, -v[4:5]
	v_add3_u32 v25, v25, 0, v24
	ds_write_b128 v25, v[8:11] offset:1808
	ds_write_b128 v25, v[4:7] offset:1824
	;; [unrolled: 1-line block ×4, first 2 shown]
.LBB0_23:
	s_or_b64 exec, exec, s[4:5]
	v_and_b32_e32 v59, 3, v20
	v_mul_u32_u24_e32 v0, 6, v59
	v_lshlrev_b32_e32 v33, 4, v0
	s_waitcnt lgkmcnt(0)
	; wave barrier
	s_waitcnt lgkmcnt(0)
	global_load_dwordx4 v[0:3], v33, s[12:13]
	global_load_dwordx4 v[4:7], v33, s[12:13] offset:16
	global_load_dwordx4 v[8:11], v33, s[12:13] offset:80
	;; [unrolled: 1-line block ×5, first 2 shown]
	ds_read_b128 v[33:36], v21 offset:448
	ds_read_b128 v[37:40], v23
	ds_read_b128 v[41:44], v21 offset:896
	ds_read_b128 v[45:48], v21 offset:1344
	;; [unrolled: 1-line block ×3, first 2 shown]
	s_mov_b32 s0, 0x37e14327
	s_mov_b32 s4, 0x36b3c0b5
	;; [unrolled: 1-line block ×20, first 2 shown]
	v_lshrrev_b32_e32 v60, 2, v20
	v_mul_u32_u24_e32 v60, 28, v60
	v_or_b32_e32 v59, v60, v59
	v_lshlrev_b32_e32 v59, 4, v59
	v_add3_u32 v24, 0, v59, v24
	s_waitcnt vmcnt(5) lgkmcnt(4)
	v_mul_f64 v[53:54], v[35:36], v[2:3]
	v_mul_f64 v[2:3], v[33:34], v[2:3]
	s_waitcnt vmcnt(4) lgkmcnt(2)
	v_mul_f64 v[57:58], v[43:44], v[6:7]
	v_mul_f64 v[6:7], v[41:42], v[6:7]
	v_fma_f64 v[53:54], v[33:34], v[0:1], v[53:54]
	v_fma_f64 v[55:56], v[35:36], v[0:1], -v[2:3]
	ds_read_b128 v[0:3], v21 offset:2240
	ds_read_b128 v[33:36], v21 offset:1792
	v_fma_f64 v[41:42], v[41:42], v[4:5], v[57:58]
	v_fma_f64 v[4:5], v[43:44], v[4:5], -v[6:7]
	s_waitcnt vmcnt(3) lgkmcnt(2)
	v_mul_f64 v[6:7], v[51:52], v[10:11]
	v_mul_f64 v[10:11], v[49:50], v[10:11]
	s_waitcnt vmcnt(1) lgkmcnt(1)
	v_mul_f64 v[57:58], v[2:3], v[27:28]
	v_mul_f64 v[27:28], v[0:1], v[27:28]
	;; [unrolled: 1-line block ×3, first 2 shown]
	s_waitcnt lgkmcnt(0)
	; wave barrier
	s_waitcnt lgkmcnt(0)
	v_fma_f64 v[6:7], v[49:50], v[8:9], v[6:7]
	v_fma_f64 v[8:9], v[51:52], v[8:9], -v[10:11]
	v_mul_f64 v[10:11], v[45:46], v[14:15]
	s_waitcnt vmcnt(0)
	v_mul_f64 v[14:15], v[35:36], v[31:32]
	v_mul_f64 v[31:32], v[33:34], v[31:32]
	v_fma_f64 v[0:1], v[0:1], v[25:26], v[57:58]
	v_fma_f64 v[2:3], v[2:3], v[25:26], -v[27:28]
	v_fma_f64 v[25:26], v[45:46], v[12:13], v[43:44]
	v_add_f64 v[27:28], v[53:54], v[6:7]
	v_add_f64 v[6:7], v[53:54], -v[6:7]
	v_fma_f64 v[10:11], v[47:48], v[12:13], -v[10:11]
	v_fma_f64 v[12:13], v[33:34], v[29:30], v[14:15]
	v_fma_f64 v[14:15], v[35:36], v[29:30], -v[31:32]
	v_add_f64 v[29:30], v[55:56], v[8:9]
	v_add_f64 v[31:32], v[41:42], v[0:1]
	;; [unrolled: 1-line block ×3, first 2 shown]
	v_add_f64 v[0:1], v[41:42], -v[0:1]
	v_add_f64 v[2:3], v[4:5], -v[2:3]
	;; [unrolled: 1-line block ×3, first 2 shown]
	v_add_f64 v[35:36], v[25:26], v[12:13]
	v_add_f64 v[41:42], v[10:11], v[14:15]
	v_add_f64 v[4:5], v[12:13], -v[25:26]
	v_add_f64 v[10:11], v[14:15], -v[10:11]
	v_add_f64 v[12:13], v[31:32], v[27:28]
	v_add_f64 v[14:15], v[33:34], v[29:30]
	v_add_f64 v[25:26], v[31:32], -v[27:28]
	v_add_f64 v[43:44], v[33:34], -v[29:30]
	;; [unrolled: 1-line block ×5, first 2 shown]
	v_add_f64 v[45:46], v[4:5], v[0:1]
	v_add_f64 v[49:50], v[4:5], -v[0:1]
	v_add_f64 v[51:52], v[0:1], -v[6:7]
	;; [unrolled: 1-line block ×3, first 2 shown]
	v_add_f64 v[12:13], v[35:36], v[12:13]
	v_add_f64 v[14:15], v[41:42], v[14:15]
	v_add_f64 v[33:34], v[41:42], -v[33:34]
	v_add_f64 v[47:48], v[10:11], v[2:3]
	v_add_f64 v[53:54], v[2:3], -v[8:9]
	v_add_f64 v[4:5], v[6:7], -v[4:5]
	;; [unrolled: 1-line block ×3, first 2 shown]
	v_add_f64 v[6:7], v[45:46], v[6:7]
	v_mul_f64 v[27:28], v[27:28], s[0:1]
	v_mul_f64 v[35:36], v[31:32], s[4:5]
	;; [unrolled: 1-line block ×5, first 2 shown]
	v_add_f64 v[0:1], v[37:38], v[12:13]
	v_add_f64 v[2:3], v[39:40], v[14:15]
	;; [unrolled: 1-line block ×3, first 2 shown]
	v_mul_f64 v[41:42], v[33:34], s[4:5]
	v_mul_f64 v[47:48], v[51:52], s[18:19]
	;; [unrolled: 1-line block ×3, first 2 shown]
	v_fma_f64 v[31:32], v[31:32], s[4:5], v[27:28]
	v_fma_f64 v[35:36], v[25:26], s[14:15], -v[35:36]
	v_fma_f64 v[25:26], v[25:26], s[16:17], -v[27:28]
	v_fma_f64 v[27:28], v[33:34], s[4:5], v[29:30]
	v_fma_f64 v[37:38], v[4:5], s[22:23], v[45:46]
	;; [unrolled: 1-line block ×5, first 2 shown]
	v_fma_f64 v[33:34], v[43:44], s[14:15], -v[41:42]
	v_fma_f64 v[29:30], v[43:44], s[16:17], -v[29:30]
	;; [unrolled: 1-line block ×6, first 2 shown]
	v_fma_f64 v[37:38], v[6:7], s[8:9], v[37:38]
	v_fma_f64 v[39:40], v[8:9], s[8:9], v[39:40]
	v_add_f64 v[45:46], v[31:32], v[12:13]
	v_add_f64 v[47:48], v[27:28], v[14:15]
	v_fma_f64 v[43:44], v[8:9], s[8:9], v[43:44]
	v_add_f64 v[27:28], v[35:36], v[12:13]
	v_add_f64 v[31:32], v[33:34], v[14:15]
	v_fma_f64 v[33:34], v[6:7], s[8:9], v[4:5]
	v_fma_f64 v[35:36], v[8:9], s[8:9], v[10:11]
	v_add_f64 v[49:50], v[25:26], v[12:13]
	v_add_f64 v[51:52], v[29:30], v[14:15]
	v_fma_f64 v[41:42], v[6:7], s[8:9], v[41:42]
	v_add_f64 v[4:5], v[39:40], v[45:46]
	v_add_f64 v[6:7], v[47:48], -v[37:38]
	v_add_f64 v[8:9], v[27:28], -v[43:44]
	v_add_f64 v[12:13], v[43:44], v[27:28]
	v_add_f64 v[25:26], v[35:36], v[49:50]
	v_add_f64 v[27:28], v[51:52], -v[33:34]
	v_add_f64 v[10:11], v[41:42], v[31:32]
	v_add_f64 v[14:15], v[31:32], -v[41:42]
	v_add_f64 v[29:30], v[49:50], -v[35:36]
	v_add_f64 v[31:32], v[33:34], v[51:52]
	v_add_f64 v[33:34], v[45:46], -v[39:40]
	v_add_f64 v[35:36], v[37:38], v[47:48]
	ds_write_b128 v24, v[0:3]
	ds_write_b128 v24, v[4:7] offset:64
	ds_write_b128 v24, v[25:28] offset:128
	;; [unrolled: 1-line block ×6, first 2 shown]
	v_mul_u32_u24_e32 v0, 6, v20
	v_lshlrev_b32_e32 v32, 4, v0
	s_waitcnt lgkmcnt(0)
	; wave barrier
	s_waitcnt lgkmcnt(0)
	global_load_dwordx4 v[0:3], v32, s[12:13] offset:384
	global_load_dwordx4 v[4:7], v32, s[12:13] offset:400
	;; [unrolled: 1-line block ×6, first 2 shown]
	ds_read_b128 v[32:35], v21 offset:448
	ds_read_b128 v[36:39], v23
	ds_read_b128 v[40:43], v21 offset:896
	ds_read_b128 v[44:47], v21 offset:1344
	;; [unrolled: 1-line block ×3, first 2 shown]
	s_waitcnt vmcnt(5) lgkmcnt(4)
	v_mul_f64 v[52:53], v[34:35], v[2:3]
	v_mul_f64 v[2:3], v[32:33], v[2:3]
	s_waitcnt vmcnt(4) lgkmcnt(2)
	v_mul_f64 v[54:55], v[42:43], v[6:7]
	v_mul_f64 v[6:7], v[40:41], v[6:7]
	;; [unrolled: 3-line block ×3, first 2 shown]
	v_fma_f64 v[52:53], v[32:33], v[0:1], v[52:53]
	v_fma_f64 v[56:57], v[34:35], v[0:1], -v[2:3]
	ds_read_b128 v[0:3], v21 offset:2240
	ds_read_b128 v[32:35], v21 offset:1792
	v_fma_f64 v[40:41], v[40:41], v[4:5], v[54:55]
	v_fma_f64 v[4:5], v[42:43], v[4:5], -v[6:7]
	s_waitcnt vmcnt(1)
	v_mul_f64 v[42:43], v[46:47], v[26:27]
	s_waitcnt lgkmcnt(1)
	v_mul_f64 v[6:7], v[2:3], v[14:15]
	v_mul_f64 v[14:15], v[0:1], v[14:15]
	;; [unrolled: 1-line block ×3, first 2 shown]
	v_fma_f64 v[48:49], v[48:49], v[8:9], v[58:59]
	v_fma_f64 v[8:9], v[50:51], v[8:9], -v[10:11]
	s_waitcnt vmcnt(0) lgkmcnt(0)
	v_mul_f64 v[10:11], v[34:35], v[30:31]
	v_mul_f64 v[30:31], v[32:33], v[30:31]
	v_fma_f64 v[0:1], v[0:1], v[12:13], v[6:7]
	v_fma_f64 v[2:3], v[2:3], v[12:13], -v[14:15]
	v_fma_f64 v[6:7], v[44:45], v[24:25], v[42:43]
	v_fma_f64 v[12:13], v[46:47], v[24:25], -v[26:27]
	v_add_f64 v[23:24], v[52:53], v[48:49]
	v_fma_f64 v[10:11], v[32:33], v[28:29], v[10:11]
	v_fma_f64 v[14:15], v[34:35], v[28:29], -v[30:31]
	v_add_f64 v[25:26], v[56:57], v[8:9]
	v_add_f64 v[27:28], v[40:41], v[0:1]
	;; [unrolled: 1-line block ×3, first 2 shown]
	v_add_f64 v[0:1], v[40:41], -v[0:1]
	v_add_f64 v[2:3], v[4:5], -v[2:3]
	;; [unrolled: 1-line block ×3, first 2 shown]
	v_add_f64 v[33:34], v[6:7], v[10:11]
	v_add_f64 v[42:43], v[12:13], v[14:15]
	v_add_f64 v[4:5], v[10:11], -v[6:7]
	v_add_f64 v[6:7], v[14:15], -v[12:13]
	v_add_f64 v[10:11], v[27:28], v[23:24]
	v_add_f64 v[12:13], v[29:30], v[25:26]
	v_add_f64 v[8:9], v[56:57], -v[8:9]
	v_add_f64 v[14:15], v[27:28], -v[23:24]
	;; [unrolled: 1-line block ×6, first 2 shown]
	v_add_f64 v[44:45], v[4:5], v[0:1]
	v_add_f64 v[46:47], v[6:7], v[2:3]
	v_add_f64 v[48:49], v[4:5], -v[0:1]
	v_add_f64 v[50:51], v[6:7], -v[2:3]
	v_add_f64 v[10:11], v[33:34], v[10:11]
	v_add_f64 v[12:13], v[42:43], v[12:13]
	v_add_f64 v[29:30], v[42:43], -v[29:30]
	v_add_f64 v[52:53], v[0:1], -v[31:32]
	;; [unrolled: 1-line block ×5, first 2 shown]
	v_add_f64 v[31:32], v[44:45], v[31:32]
	v_mul_f64 v[23:24], v[23:24], s[0:1]
	v_mul_f64 v[33:34], v[27:28], s[4:5]
	v_add_f64 v[8:9], v[46:47], v[8:9]
	v_mul_f64 v[25:26], v[25:26], s[0:1]
	v_mul_f64 v[44:45], v[48:49], s[24:25]
	;; [unrolled: 1-line block ×3, first 2 shown]
	v_add_f64 v[0:1], v[36:37], v[10:11]
	v_add_f64 v[2:3], v[38:39], v[12:13]
	v_mul_f64 v[42:43], v[29:30], s[4:5]
	v_mul_f64 v[48:49], v[52:53], s[18:19]
	;; [unrolled: 1-line block ×3, first 2 shown]
	v_fma_f64 v[27:28], v[27:28], s[4:5], v[23:24]
	v_fma_f64 v[33:34], v[14:15], s[14:15], -v[33:34]
	v_fma_f64 v[14:15], v[14:15], s[16:17], -v[23:24]
	v_fma_f64 v[23:24], v[29:30], s[4:5], v[25:26]
	v_fma_f64 v[35:36], v[4:5], s[22:23], v[44:45]
	;; [unrolled: 1-line block ×5, first 2 shown]
	v_fma_f64 v[29:30], v[40:41], s[14:15], -v[42:43]
	v_fma_f64 v[25:26], v[40:41], s[16:17], -v[25:26]
	;; [unrolled: 1-line block ×6, first 2 shown]
	v_fma_f64 v[35:36], v[31:32], s[8:9], v[35:36]
	v_fma_f64 v[37:38], v[8:9], s[8:9], v[37:38]
	v_add_f64 v[45:46], v[27:28], v[10:11]
	v_add_f64 v[47:48], v[23:24], v[12:13]
	v_fma_f64 v[39:40], v[31:32], s[8:9], v[39:40]
	v_fma_f64 v[31:32], v[31:32], s[8:9], v[4:5]
	;; [unrolled: 1-line block ×3, first 2 shown]
	v_add_f64 v[27:28], v[14:15], v[10:11]
	v_add_f64 v[49:50], v[25:26], v[12:13]
	v_fma_f64 v[41:42], v[8:9], s[8:9], v[41:42]
	v_add_f64 v[23:24], v[33:34], v[10:11]
	v_add_f64 v[25:26], v[29:30], v[12:13]
	;; [unrolled: 1-line block ×3, first 2 shown]
	v_add_f64 v[6:7], v[47:48], -v[35:36]
	v_add_f64 v[33:34], v[35:36], v[47:48]
	v_add_f64 v[8:9], v[43:44], v[27:28]
	v_add_f64 v[10:11], v[49:50], -v[31:32]
	v_add_f64 v[27:28], v[27:28], -v[43:44]
	v_add_f64 v[12:13], v[23:24], -v[41:42]
	v_add_f64 v[14:15], v[39:40], v[25:26]
	v_add_f64 v[23:24], v[41:42], v[23:24]
	v_add_f64 v[25:26], v[25:26], -v[39:40]
	v_add_f64 v[29:30], v[31:32], v[49:50]
	v_add_f64 v[31:32], v[45:46], -v[37:38]
	; wave barrier
	ds_write_b128 v21, v[0:3]
	ds_write_b128 v21, v[4:7] offset:448
	ds_write_b128 v21, v[8:11] offset:896
	;; [unrolled: 1-line block ×6, first 2 shown]
	s_waitcnt lgkmcnt(0)
	; wave barrier
	s_waitcnt lgkmcnt(0)
	s_and_saveexec_b64 s[0:1], vcc
	s_cbranch_execz .LBB0_25
; %bb.24:
	v_mul_lo_u32 v0, s3, v18
	v_mul_lo_u32 v1, s2, v19
	v_mad_u64_u32 v[4:5], s[0:1], s2, v18, 0
	v_mov_b32_e32 v6, s11
	v_lshl_add_u32 v10, v20, 4, v22
	v_add3_u32 v5, v5, v1, v0
	v_lshlrev_b64 v[4:5], 4, v[4:5]
	v_mov_b32_e32 v21, 0
	v_add_co_u32_e32 v7, vcc, s10, v4
	v_addc_co_u32_e32 v6, vcc, v6, v5, vcc
	v_lshlrev_b64 v[4:5], 4, v[16:17]
	ds_read_b128 v[0:3], v10
	v_add_co_u32_e32 v11, vcc, v7, v4
	v_addc_co_u32_e32 v12, vcc, v6, v5, vcc
	v_lshlrev_b64 v[4:5], 4, v[20:21]
	v_add_co_u32_e32 v8, vcc, v11, v4
	v_addc_co_u32_e32 v9, vcc, v12, v5, vcc
	ds_read_b128 v[4:7], v10 offset:448
	s_waitcnt lgkmcnt(1)
	global_store_dwordx4 v[8:9], v[0:3], off
	s_nop 0
	v_add_u32_e32 v0, 28, v20
	v_mov_b32_e32 v1, v21
	v_lshlrev_b64 v[0:1], 4, v[0:1]
	v_add_co_u32_e32 v0, vcc, v11, v0
	v_addc_co_u32_e32 v1, vcc, v12, v1, vcc
	s_waitcnt lgkmcnt(0)
	global_store_dwordx4 v[0:1], v[4:7], off
	ds_read_b128 v[0:3], v10 offset:896
	v_add_u32_e32 v4, 56, v20
	v_mov_b32_e32 v5, v21
	v_lshlrev_b64 v[4:5], 4, v[4:5]
	v_add_co_u32_e32 v8, vcc, v11, v4
	v_addc_co_u32_e32 v9, vcc, v12, v5, vcc
	ds_read_b128 v[4:7], v10 offset:1344
	s_waitcnt lgkmcnt(1)
	global_store_dwordx4 v[8:9], v[0:3], off
	s_nop 0
	v_add_u32_e32 v0, 0x54, v20
	v_mov_b32_e32 v1, v21
	v_lshlrev_b64 v[0:1], 4, v[0:1]
	v_add_co_u32_e32 v0, vcc, v11, v0
	v_addc_co_u32_e32 v1, vcc, v12, v1, vcc
	s_waitcnt lgkmcnt(0)
	global_store_dwordx4 v[0:1], v[4:7], off
	ds_read_b128 v[0:3], v10 offset:1792
	v_add_u32_e32 v4, 0x70, v20
	v_mov_b32_e32 v5, v21
	v_lshlrev_b64 v[4:5], 4, v[4:5]
	v_add_co_u32_e32 v8, vcc, v11, v4
	v_addc_co_u32_e32 v9, vcc, v12, v5, vcc
	ds_read_b128 v[4:7], v10 offset:2240
	s_waitcnt lgkmcnt(1)
	global_store_dwordx4 v[8:9], v[0:3], off
	s_nop 0
	v_add_u32_e32 v0, 0x8c, v20
	v_mov_b32_e32 v1, v21
	v_lshlrev_b64 v[0:1], 4, v[0:1]
	v_add_u32_e32 v20, 0xa8, v20
	v_add_co_u32_e32 v0, vcc, v11, v0
	v_addc_co_u32_e32 v1, vcc, v12, v1, vcc
	s_waitcnt lgkmcnt(0)
	global_store_dwordx4 v[0:1], v[4:7], off
	ds_read_b128 v[0:3], v10 offset:2688
	v_lshlrev_b64 v[4:5], 4, v[20:21]
	v_add_co_u32_e32 v4, vcc, v11, v4
	v_addc_co_u32_e32 v5, vcc, v12, v5, vcc
	s_waitcnt lgkmcnt(0)
	global_store_dwordx4 v[4:5], v[0:3], off
.LBB0_25:
	s_endpgm
	.section	.rodata,"a",@progbits
	.p2align	6, 0x0
	.amdhsa_kernel fft_rtc_back_len196_factors_4_7_7_wgs_56_tpt_28_dp_op_CI_CI_unitstride_sbrr_C2R_dirReg
		.amdhsa_group_segment_fixed_size 0
		.amdhsa_private_segment_fixed_size 0
		.amdhsa_kernarg_size 104
		.amdhsa_user_sgpr_count 6
		.amdhsa_user_sgpr_private_segment_buffer 1
		.amdhsa_user_sgpr_dispatch_ptr 0
		.amdhsa_user_sgpr_queue_ptr 0
		.amdhsa_user_sgpr_kernarg_segment_ptr 1
		.amdhsa_user_sgpr_dispatch_id 0
		.amdhsa_user_sgpr_flat_scratch_init 0
		.amdhsa_user_sgpr_private_segment_size 0
		.amdhsa_uses_dynamic_stack 0
		.amdhsa_system_sgpr_private_segment_wavefront_offset 0
		.amdhsa_system_sgpr_workgroup_id_x 1
		.amdhsa_system_sgpr_workgroup_id_y 0
		.amdhsa_system_sgpr_workgroup_id_z 0
		.amdhsa_system_sgpr_workgroup_info 0
		.amdhsa_system_vgpr_workitem_id 0
		.amdhsa_next_free_vgpr 61
		.amdhsa_next_free_sgpr 28
		.amdhsa_reserve_vcc 1
		.amdhsa_reserve_flat_scratch 0
		.amdhsa_float_round_mode_32 0
		.amdhsa_float_round_mode_16_64 0
		.amdhsa_float_denorm_mode_32 3
		.amdhsa_float_denorm_mode_16_64 3
		.amdhsa_dx10_clamp 1
		.amdhsa_ieee_mode 1
		.amdhsa_fp16_overflow 0
		.amdhsa_exception_fp_ieee_invalid_op 0
		.amdhsa_exception_fp_denorm_src 0
		.amdhsa_exception_fp_ieee_div_zero 0
		.amdhsa_exception_fp_ieee_overflow 0
		.amdhsa_exception_fp_ieee_underflow 0
		.amdhsa_exception_fp_ieee_inexact 0
		.amdhsa_exception_int_div_zero 0
	.end_amdhsa_kernel
	.text
.Lfunc_end0:
	.size	fft_rtc_back_len196_factors_4_7_7_wgs_56_tpt_28_dp_op_CI_CI_unitstride_sbrr_C2R_dirReg, .Lfunc_end0-fft_rtc_back_len196_factors_4_7_7_wgs_56_tpt_28_dp_op_CI_CI_unitstride_sbrr_C2R_dirReg
                                        ; -- End function
	.section	.AMDGPU.csdata,"",@progbits
; Kernel info:
; codeLenInByte = 5504
; NumSgprs: 32
; NumVgprs: 61
; ScratchSize: 0
; MemoryBound: 0
; FloatMode: 240
; IeeeMode: 1
; LDSByteSize: 0 bytes/workgroup (compile time only)
; SGPRBlocks: 3
; VGPRBlocks: 15
; NumSGPRsForWavesPerEU: 32
; NumVGPRsForWavesPerEU: 61
; Occupancy: 4
; WaveLimiterHint : 1
; COMPUTE_PGM_RSRC2:SCRATCH_EN: 0
; COMPUTE_PGM_RSRC2:USER_SGPR: 6
; COMPUTE_PGM_RSRC2:TRAP_HANDLER: 0
; COMPUTE_PGM_RSRC2:TGID_X_EN: 1
; COMPUTE_PGM_RSRC2:TGID_Y_EN: 0
; COMPUTE_PGM_RSRC2:TGID_Z_EN: 0
; COMPUTE_PGM_RSRC2:TIDIG_COMP_CNT: 0
	.type	__hip_cuid_1058180539df83fe,@object ; @__hip_cuid_1058180539df83fe
	.section	.bss,"aw",@nobits
	.globl	__hip_cuid_1058180539df83fe
__hip_cuid_1058180539df83fe:
	.byte	0                               ; 0x0
	.size	__hip_cuid_1058180539df83fe, 1

	.ident	"AMD clang version 19.0.0git (https://github.com/RadeonOpenCompute/llvm-project roc-6.4.0 25133 c7fe45cf4b819c5991fe208aaa96edf142730f1d)"
	.section	".note.GNU-stack","",@progbits
	.addrsig
	.addrsig_sym __hip_cuid_1058180539df83fe
	.amdgpu_metadata
---
amdhsa.kernels:
  - .args:
      - .actual_access:  read_only
        .address_space:  global
        .offset:         0
        .size:           8
        .value_kind:     global_buffer
      - .offset:         8
        .size:           8
        .value_kind:     by_value
      - .actual_access:  read_only
        .address_space:  global
        .offset:         16
        .size:           8
        .value_kind:     global_buffer
      - .actual_access:  read_only
        .address_space:  global
        .offset:         24
        .size:           8
        .value_kind:     global_buffer
      - .actual_access:  read_only
        .address_space:  global
        .offset:         32
        .size:           8
        .value_kind:     global_buffer
      - .offset:         40
        .size:           8
        .value_kind:     by_value
      - .actual_access:  read_only
        .address_space:  global
        .offset:         48
        .size:           8
        .value_kind:     global_buffer
      - .actual_access:  read_only
        .address_space:  global
        .offset:         56
        .size:           8
        .value_kind:     global_buffer
      - .offset:         64
        .size:           4
        .value_kind:     by_value
      - .actual_access:  read_only
        .address_space:  global
        .offset:         72
        .size:           8
        .value_kind:     global_buffer
      - .actual_access:  read_only
        .address_space:  global
        .offset:         80
        .size:           8
        .value_kind:     global_buffer
      - .actual_access:  read_only
        .address_space:  global
        .offset:         88
        .size:           8
        .value_kind:     global_buffer
      - .actual_access:  write_only
        .address_space:  global
        .offset:         96
        .size:           8
        .value_kind:     global_buffer
    .group_segment_fixed_size: 0
    .kernarg_segment_align: 8
    .kernarg_segment_size: 104
    .language:       OpenCL C
    .language_version:
      - 2
      - 0
    .max_flat_workgroup_size: 56
    .name:           fft_rtc_back_len196_factors_4_7_7_wgs_56_tpt_28_dp_op_CI_CI_unitstride_sbrr_C2R_dirReg
    .private_segment_fixed_size: 0
    .sgpr_count:     32
    .sgpr_spill_count: 0
    .symbol:         fft_rtc_back_len196_factors_4_7_7_wgs_56_tpt_28_dp_op_CI_CI_unitstride_sbrr_C2R_dirReg.kd
    .uniform_work_group_size: 1
    .uses_dynamic_stack: false
    .vgpr_count:     61
    .vgpr_spill_count: 0
    .wavefront_size: 64
amdhsa.target:   amdgcn-amd-amdhsa--gfx906
amdhsa.version:
  - 1
  - 2
...

	.end_amdgpu_metadata
